;; amdgpu-corpus repo=ROCm/rocFFT kind=compiled arch=gfx1030 opt=O3
	.text
	.amdgcn_target "amdgcn-amd-amdhsa--gfx1030"
	.amdhsa_code_object_version 6
	.protected	fft_rtc_fwd_len1024_factors_8_8_4_4_wgs_128_tpt_128_halfLds_dp_op_CI_CI_unitstride_sbrr_C2R_dirReg ; -- Begin function fft_rtc_fwd_len1024_factors_8_8_4_4_wgs_128_tpt_128_halfLds_dp_op_CI_CI_unitstride_sbrr_C2R_dirReg
	.globl	fft_rtc_fwd_len1024_factors_8_8_4_4_wgs_128_tpt_128_halfLds_dp_op_CI_CI_unitstride_sbrr_C2R_dirReg
	.p2align	8
	.type	fft_rtc_fwd_len1024_factors_8_8_4_4_wgs_128_tpt_128_halfLds_dp_op_CI_CI_unitstride_sbrr_C2R_dirReg,@function
fft_rtc_fwd_len1024_factors_8_8_4_4_wgs_128_tpt_128_halfLds_dp_op_CI_CI_unitstride_sbrr_C2R_dirReg: ; @fft_rtc_fwd_len1024_factors_8_8_4_4_wgs_128_tpt_128_halfLds_dp_op_CI_CI_unitstride_sbrr_C2R_dirReg
; %bb.0:
	s_clause 0x2
	s_load_dwordx4 s[12:15], s[4:5], 0x0
	s_load_dwordx4 s[8:11], s[4:5], 0x58
	;; [unrolled: 1-line block ×3, first 2 shown]
	v_mov_b32_e32 v3, 0
	v_mov_b32_e32 v1, 0
	v_mov_b32_e32 v9, s6
	v_mov_b32_e32 v2, 0
	v_mov_b32_e32 v10, v3
	s_waitcnt lgkmcnt(0)
	v_cmp_lt_u64_e64 s0, s[14:15], 2
	s_and_b32 vcc_lo, exec_lo, s0
	s_cbranch_vccnz .LBB0_8
; %bb.1:
	s_load_dwordx2 s[0:1], s[4:5], 0x10
	v_mov_b32_e32 v1, 0
	v_mov_b32_e32 v2, 0
	s_add_u32 s2, s18, 8
	s_addc_u32 s3, s19, 0
	s_add_u32 s6, s16, 8
	s_addc_u32 s7, s17, 0
	v_mov_b32_e32 v6, v2
	v_mov_b32_e32 v5, v1
	s_mov_b64 s[22:23], 1
	s_waitcnt lgkmcnt(0)
	s_add_u32 s20, s0, 8
	s_addc_u32 s21, s1, 0
.LBB0_2:                                ; =>This Inner Loop Header: Depth=1
	s_load_dwordx2 s[24:25], s[20:21], 0x0
                                        ; implicit-def: $vgpr7_vgpr8
	s_mov_b32 s0, exec_lo
	s_waitcnt lgkmcnt(0)
	v_or_b32_e32 v4, s25, v10
	v_cmpx_ne_u64_e32 0, v[3:4]
	s_xor_b32 s1, exec_lo, s0
	s_cbranch_execz .LBB0_4
; %bb.3:                                ;   in Loop: Header=BB0_2 Depth=1
	v_cvt_f32_u32_e32 v4, s24
	v_cvt_f32_u32_e32 v7, s25
	s_sub_u32 s0, 0, s24
	s_subb_u32 s26, 0, s25
	v_fmac_f32_e32 v4, 0x4f800000, v7
	v_rcp_f32_e32 v4, v4
	v_mul_f32_e32 v4, 0x5f7ffffc, v4
	v_mul_f32_e32 v7, 0x2f800000, v4
	v_trunc_f32_e32 v7, v7
	v_fmac_f32_e32 v4, 0xcf800000, v7
	v_cvt_u32_f32_e32 v7, v7
	v_cvt_u32_f32_e32 v4, v4
	v_mul_lo_u32 v8, s0, v7
	v_mul_hi_u32 v11, s0, v4
	v_mul_lo_u32 v12, s26, v4
	v_add_nc_u32_e32 v8, v11, v8
	v_mul_lo_u32 v11, s0, v4
	v_add_nc_u32_e32 v8, v8, v12
	v_mul_hi_u32 v12, v4, v11
	v_mul_lo_u32 v13, v4, v8
	v_mul_hi_u32 v14, v4, v8
	v_mul_hi_u32 v15, v7, v11
	v_mul_lo_u32 v11, v7, v11
	v_mul_hi_u32 v16, v7, v8
	v_mul_lo_u32 v8, v7, v8
	v_add_co_u32 v12, vcc_lo, v12, v13
	v_add_co_ci_u32_e32 v13, vcc_lo, 0, v14, vcc_lo
	v_add_co_u32 v11, vcc_lo, v12, v11
	v_add_co_ci_u32_e32 v11, vcc_lo, v13, v15, vcc_lo
	v_add_co_ci_u32_e32 v12, vcc_lo, 0, v16, vcc_lo
	v_add_co_u32 v8, vcc_lo, v11, v8
	v_add_co_ci_u32_e32 v11, vcc_lo, 0, v12, vcc_lo
	v_add_co_u32 v4, vcc_lo, v4, v8
	v_add_co_ci_u32_e32 v7, vcc_lo, v7, v11, vcc_lo
	v_mul_hi_u32 v8, s0, v4
	v_mul_lo_u32 v12, s26, v4
	v_mul_lo_u32 v11, s0, v7
	v_add_nc_u32_e32 v8, v8, v11
	v_mul_lo_u32 v11, s0, v4
	v_add_nc_u32_e32 v8, v8, v12
	v_mul_hi_u32 v12, v4, v11
	v_mul_lo_u32 v13, v4, v8
	v_mul_hi_u32 v14, v4, v8
	v_mul_hi_u32 v15, v7, v11
	v_mul_lo_u32 v11, v7, v11
	v_mul_hi_u32 v16, v7, v8
	v_mul_lo_u32 v8, v7, v8
	v_add_co_u32 v12, vcc_lo, v12, v13
	v_add_co_ci_u32_e32 v13, vcc_lo, 0, v14, vcc_lo
	v_add_co_u32 v11, vcc_lo, v12, v11
	v_add_co_ci_u32_e32 v11, vcc_lo, v13, v15, vcc_lo
	v_add_co_ci_u32_e32 v12, vcc_lo, 0, v16, vcc_lo
	v_add_co_u32 v8, vcc_lo, v11, v8
	v_add_co_ci_u32_e32 v11, vcc_lo, 0, v12, vcc_lo
	v_add_co_u32 v4, vcc_lo, v4, v8
	v_add_co_ci_u32_e32 v13, vcc_lo, v7, v11, vcc_lo
	v_mul_hi_u32 v15, v9, v4
	v_mad_u64_u32 v[11:12], null, v10, v4, 0
	v_mad_u64_u32 v[7:8], null, v9, v13, 0
	;; [unrolled: 1-line block ×3, first 2 shown]
	v_add_co_u32 v4, vcc_lo, v15, v7
	v_add_co_ci_u32_e32 v7, vcc_lo, 0, v8, vcc_lo
	v_add_co_u32 v4, vcc_lo, v4, v11
	v_add_co_ci_u32_e32 v4, vcc_lo, v7, v12, vcc_lo
	v_add_co_ci_u32_e32 v7, vcc_lo, 0, v14, vcc_lo
	v_add_co_u32 v4, vcc_lo, v4, v13
	v_add_co_ci_u32_e32 v11, vcc_lo, 0, v7, vcc_lo
	v_mul_lo_u32 v12, s25, v4
	v_mad_u64_u32 v[7:8], null, s24, v4, 0
	v_mul_lo_u32 v13, s24, v11
	v_sub_co_u32 v7, vcc_lo, v9, v7
	v_add3_u32 v8, v8, v13, v12
	v_sub_nc_u32_e32 v12, v10, v8
	v_subrev_co_ci_u32_e64 v12, s0, s25, v12, vcc_lo
	v_add_co_u32 v13, s0, v4, 2
	v_add_co_ci_u32_e64 v14, s0, 0, v11, s0
	v_sub_co_u32 v15, s0, v7, s24
	v_sub_co_ci_u32_e32 v8, vcc_lo, v10, v8, vcc_lo
	v_subrev_co_ci_u32_e64 v12, s0, 0, v12, s0
	v_cmp_le_u32_e32 vcc_lo, s24, v15
	v_cmp_eq_u32_e64 s0, s25, v8
	v_cndmask_b32_e64 v15, 0, -1, vcc_lo
	v_cmp_le_u32_e32 vcc_lo, s25, v12
	v_cndmask_b32_e64 v16, 0, -1, vcc_lo
	v_cmp_le_u32_e32 vcc_lo, s24, v7
	;; [unrolled: 2-line block ×3, first 2 shown]
	v_cndmask_b32_e64 v17, 0, -1, vcc_lo
	v_cmp_eq_u32_e32 vcc_lo, s25, v12
	v_cndmask_b32_e64 v7, v17, v7, s0
	v_cndmask_b32_e32 v12, v16, v15, vcc_lo
	v_add_co_u32 v15, vcc_lo, v4, 1
	v_add_co_ci_u32_e32 v16, vcc_lo, 0, v11, vcc_lo
	v_cmp_ne_u32_e32 vcc_lo, 0, v12
	v_cndmask_b32_e32 v8, v16, v14, vcc_lo
	v_cndmask_b32_e32 v12, v15, v13, vcc_lo
	v_cmp_ne_u32_e32 vcc_lo, 0, v7
	v_cndmask_b32_e32 v8, v11, v8, vcc_lo
	v_cndmask_b32_e32 v7, v4, v12, vcc_lo
.LBB0_4:                                ;   in Loop: Header=BB0_2 Depth=1
	s_andn2_saveexec_b32 s0, s1
	s_cbranch_execz .LBB0_6
; %bb.5:                                ;   in Loop: Header=BB0_2 Depth=1
	v_cvt_f32_u32_e32 v4, s24
	s_sub_i32 s1, 0, s24
	v_rcp_iflag_f32_e32 v4, v4
	v_mul_f32_e32 v4, 0x4f7ffffe, v4
	v_cvt_u32_f32_e32 v4, v4
	v_mul_lo_u32 v7, s1, v4
	v_mul_hi_u32 v7, v4, v7
	v_add_nc_u32_e32 v4, v4, v7
	v_mul_hi_u32 v4, v9, v4
	v_mul_lo_u32 v7, v4, s24
	v_add_nc_u32_e32 v8, 1, v4
	v_sub_nc_u32_e32 v7, v9, v7
	v_subrev_nc_u32_e32 v11, s24, v7
	v_cmp_le_u32_e32 vcc_lo, s24, v7
	v_cndmask_b32_e32 v7, v7, v11, vcc_lo
	v_cndmask_b32_e32 v4, v4, v8, vcc_lo
	v_cmp_le_u32_e32 vcc_lo, s24, v7
	v_add_nc_u32_e32 v8, 1, v4
	v_cndmask_b32_e32 v7, v4, v8, vcc_lo
	v_mov_b32_e32 v8, v3
.LBB0_6:                                ;   in Loop: Header=BB0_2 Depth=1
	s_or_b32 exec_lo, exec_lo, s0
	v_mul_lo_u32 v4, v8, s24
	v_mul_lo_u32 v13, v7, s25
	s_load_dwordx2 s[0:1], s[6:7], 0x0
	v_mad_u64_u32 v[11:12], null, v7, s24, 0
	s_load_dwordx2 s[24:25], s[2:3], 0x0
	s_add_u32 s22, s22, 1
	s_addc_u32 s23, s23, 0
	s_add_u32 s2, s2, 8
	s_addc_u32 s3, s3, 0
	s_add_u32 s6, s6, 8
	v_add3_u32 v4, v12, v13, v4
	v_sub_co_u32 v9, vcc_lo, v9, v11
	s_addc_u32 s7, s7, 0
	s_add_u32 s20, s20, 8
	v_sub_co_ci_u32_e32 v4, vcc_lo, v10, v4, vcc_lo
	s_addc_u32 s21, s21, 0
	s_waitcnt lgkmcnt(0)
	v_mul_lo_u32 v10, s0, v4
	v_mul_lo_u32 v11, s1, v9
	v_mad_u64_u32 v[1:2], null, s0, v9, v[1:2]
	v_mul_lo_u32 v4, s24, v4
	v_mul_lo_u32 v12, s25, v9
	v_mad_u64_u32 v[5:6], null, s24, v9, v[5:6]
	v_cmp_ge_u64_e64 s0, s[22:23], s[14:15]
	v_add3_u32 v2, v11, v2, v10
	v_add3_u32 v6, v12, v6, v4
	s_and_b32 vcc_lo, exec_lo, s0
	s_cbranch_vccnz .LBB0_9
; %bb.7:                                ;   in Loop: Header=BB0_2 Depth=1
	v_mov_b32_e32 v10, v8
	v_mov_b32_e32 v9, v7
	s_branch .LBB0_2
.LBB0_8:
	v_mov_b32_e32 v6, v2
	v_mov_b32_e32 v7, v9
	;; [unrolled: 1-line block ×4, first 2 shown]
.LBB0_9:
	s_load_dwordx2 s[0:1], s[4:5], 0x28
	s_lshl_b64 s[4:5], s[14:15], 3
                                        ; implicit-def: $vgpr9
	s_add_u32 s2, s18, s4
	s_addc_u32 s3, s19, s5
	s_waitcnt lgkmcnt(0)
	v_cmp_gt_u64_e32 vcc_lo, s[0:1], v[7:8]
	v_cmp_le_u64_e64 s0, s[0:1], v[7:8]
	s_and_saveexec_b32 s1, s0
	s_xor_b32 s0, exec_lo, s1
; %bb.10:
	v_mov_b32_e32 v9, v0
                                        ; implicit-def: $vgpr1_vgpr2
; %bb.11:
	s_or_saveexec_b32 s1, s0
	s_load_dwordx2 s[2:3], s[2:3], 0x0
	s_xor_b32 exec_lo, exec_lo, s1
	s_cbranch_execz .LBB0_15
; %bb.12:
	s_add_u32 s4, s16, s4
	s_addc_u32 s5, s17, s5
	v_lshlrev_b64 v[1:2], 4, v[1:2]
	s_load_dwordx2 s[4:5], s[4:5], 0x0
	v_lshlrev_b32_e32 v42, 4, v0
	v_or_b32_e32 v11, 0x1800, v42
	v_or_b32_e32 v12, 0x2000, v42
	;; [unrolled: 1-line block ×5, first 2 shown]
	s_waitcnt lgkmcnt(0)
	v_mul_lo_u32 v9, s5, v7
	v_mul_lo_u32 v10, s4, v8
	v_mad_u64_u32 v[3:4], null, s4, v7, 0
	s_mov_b32 s4, exec_lo
	v_add3_u32 v4, v4, v10, v9
	v_or_b32_e32 v9, 0x800, v42
	v_or_b32_e32 v10, 0x1000, v42
	v_lshlrev_b64 v[3:4], 4, v[3:4]
	v_add_co_u32 v3, s0, s8, v3
	v_add_co_ci_u32_e64 v4, s0, s9, v4, s0
	v_add_co_u32 v24, s0, v3, v1
	v_add_co_ci_u32_e64 v25, s0, v4, v2, s0
	;; [unrolled: 2-line block ×9, first 2 shown]
	s_clause 0x2
	global_load_dwordx4 v[10:13], v[1:2], off
	global_load_dwordx4 v[14:17], v[3:4], off
	;; [unrolled: 1-line block ×3, first 2 shown]
	v_add_co_u32 v1, s0, v24, v43
	v_add_co_ci_u32_e64 v2, s0, 0, v25, s0
	s_clause 0x4
	global_load_dwordx4 v[22:25], v[22:23], off
	global_load_dwordx4 v[26:29], v[26:27], off
	global_load_dwordx4 v[30:33], v[30:31], off
	global_load_dwordx4 v[34:37], v[34:35], off
	global_load_dwordx4 v[38:41], v[1:2], off
	v_add_nc_u32_e32 v4, 0, v42
	v_mov_b32_e32 v9, v0
	v_add_nc_u32_e32 v3, 0, v43
	s_waitcnt vmcnt(7)
	ds_write_b128 v4, v[10:13]
	s_waitcnt vmcnt(6)
	ds_write_b128 v4, v[14:17] offset:2048
	s_waitcnt vmcnt(5)
	ds_write_b128 v4, v[18:21] offset:4096
	;; [unrolled: 2-line block ×6, first 2 shown]
	s_waitcnt vmcnt(0)
	ds_write_b128 v3, v[38:41]
	v_cmpx_eq_u32_e32 0x7f, v0
	s_cbranch_execz .LBB0_14
; %bb.13:
	global_load_dwordx4 v[10:13], v[1:2], off offset:16
	v_mov_b32_e32 v9, 0x7f
	s_waitcnt vmcnt(0)
	ds_write_b128 v3, v[10:13] offset:16
.LBB0_14:
	s_or_b32 exec_lo, exec_lo, s4
.LBB0_15:
	s_or_b32 exec_lo, exec_lo, s1
	v_lshlrev_b32_e32 v1, 4, v9
	s_waitcnt lgkmcnt(0)
	s_barrier
	buffer_gl0_inv
	s_add_u32 s1, s12, 0x3f80
	v_add_nc_u32_e32 v11, 0, v1
	v_sub_nc_u32_e32 v12, 0, v1
	s_addc_u32 s4, s13, 0
	s_mov_b32 s5, exec_lo
	ds_read_b64 v[3:4], v11
	ds_read_b64 v[13:14], v12 offset:16384
	s_waitcnt lgkmcnt(0)
	v_add_f64 v[1:2], v[3:4], v[13:14]
	v_add_f64 v[3:4], v[3:4], -v[13:14]
	v_cmpx_ne_u32_e32 0, v9
	s_xor_b32 s5, exec_lo, s5
	s_cbranch_execz .LBB0_17
; %bb.16:
	v_mov_b32_e32 v10, 0
	v_lshlrev_b64 v[13:14], 4, v[9:10]
	v_add_co_u32 v13, s0, s1, v13
	v_add_co_ci_u32_e64 v14, s0, s4, v14, s0
	global_load_dwordx4 v[13:16], v[13:14], off
	ds_read_b64 v[17:18], v12 offset:16392
	ds_read_b64 v[19:20], v11 offset:8
	s_waitcnt lgkmcnt(0)
	v_add_f64 v[21:22], v[17:18], v[19:20]
	v_add_f64 v[17:18], v[19:20], -v[17:18]
	s_waitcnt vmcnt(0)
	v_fma_f64 v[19:20], v[3:4], v[15:16], v[1:2]
	v_fma_f64 v[23:24], v[21:22], v[15:16], v[17:18]
	v_fma_f64 v[1:2], -v[3:4], v[15:16], v[1:2]
	v_fma_f64 v[25:26], v[21:22], v[15:16], -v[17:18]
	v_fma_f64 v[15:16], -v[21:22], v[13:14], v[19:20]
	v_fma_f64 v[17:18], v[3:4], v[13:14], v[23:24]
	v_fma_f64 v[1:2], v[21:22], v[13:14], v[1:2]
	v_fma_f64 v[3:4], v[3:4], v[13:14], v[25:26]
	ds_write_b128 v11, v[15:18]
	ds_write_b128 v12, v[1:4] offset:16384
                                        ; implicit-def: $vgpr1_vgpr2
.LBB0_17:
	s_andn2_saveexec_b32 s0, s5
	s_cbranch_execz .LBB0_19
; %bb.18:
	v_mov_b32_e32 v10, 0
	ds_write_b128 v11, v[1:4]
	ds_read_b128 v[1:4], v10 offset:8192
	s_waitcnt lgkmcnt(0)
	v_add_f64 v[1:2], v[1:2], v[1:2]
	v_mul_f64 v[3:4], v[3:4], -2.0
	ds_write_b128 v10, v[1:4] offset:8192
.LBB0_19:
	s_or_b32 exec_lo, exec_lo, s0
	v_or_b32_e32 v1, 0x80, v9
	v_mov_b32_e32 v2, 0
	s_mov_b32 s5, 0x3fe6a09e
	v_and_b32_e32 v10, 7, v0
	v_and_b32_e32 v60, 63, v0
	v_lshlrev_b64 v[3:4], 4, v[1:2]
	v_lshlrev_b32_e32 v1, 2, v1
	v_and_or_b32 v1, 0x300, v1, v60
	v_add_co_u32 v3, s0, s1, v3
	v_add_co_ci_u32_e64 v4, s0, s4, v4, s0
	v_lshl_add_u32 v1, v1, 4, 0
	global_load_dwordx4 v[13:16], v[3:4], off
	v_or_b32_e32 v3, 0x100, v9
	v_mov_b32_e32 v4, v2
	v_lshlrev_b64 v[3:4], 4, v[3:4]
	v_add_co_u32 v3, s0, s1, v3
	v_add_co_ci_u32_e64 v4, s0, s4, v4, s0
	global_load_dwordx4 v[17:20], v[3:4], off
	v_or_b32_e32 v3, 0x180, v9
	v_mov_b32_e32 v4, v2
	v_lshlrev_b64 v[3:4], 4, v[3:4]
	v_add_co_u32 v3, s0, s1, v3
	v_add_co_ci_u32_e64 v4, s0, s4, v4, s0
	s_mov_b32 s0, 0x667f3bcd
	s_mov_b32 s1, 0xbfe6a09e
	;; [unrolled: 1-line block ×3, first 2 shown]
	global_load_dwordx4 v[21:24], v[3:4], off
	ds_read_b128 v[25:28], v11 offset:2048
	ds_read_b128 v[29:32], v12 offset:14336
	s_waitcnt lgkmcnt(0)
	v_add_f64 v[3:4], v[25:26], v[29:30]
	v_add_f64 v[33:34], v[31:32], v[27:28]
	v_add_f64 v[35:36], v[25:26], -v[29:30]
	v_add_f64 v[25:26], v[27:28], -v[31:32]
	s_waitcnt vmcnt(2)
	v_fma_f64 v[27:28], v[35:36], v[15:16], v[3:4]
	v_fma_f64 v[29:30], v[33:34], v[15:16], v[25:26]
	v_fma_f64 v[3:4], -v[35:36], v[15:16], v[3:4]
	v_fma_f64 v[15:16], v[33:34], v[15:16], -v[25:26]
	v_fma_f64 v[25:26], -v[33:34], v[13:14], v[27:28]
	v_fma_f64 v[27:28], v[35:36], v[13:14], v[29:30]
	v_fma_f64 v[29:30], v[33:34], v[13:14], v[3:4]
	v_fma_f64 v[31:32], v[35:36], v[13:14], v[15:16]
	ds_write_b128 v11, v[25:28] offset:2048
	ds_write_b128 v12, v[29:32] offset:14336
	ds_read_b128 v[13:16], v11 offset:4096
	ds_read_b128 v[25:28], v12 offset:12288
	s_waitcnt lgkmcnt(0)
	v_add_f64 v[3:4], v[13:14], v[25:26]
	v_add_f64 v[29:30], v[27:28], v[15:16]
	v_add_f64 v[31:32], v[13:14], -v[25:26]
	v_add_f64 v[13:14], v[15:16], -v[27:28]
	s_waitcnt vmcnt(1)
	v_fma_f64 v[15:16], v[31:32], v[19:20], v[3:4]
	v_fma_f64 v[25:26], v[29:30], v[19:20], v[13:14]
	v_fma_f64 v[3:4], -v[31:32], v[19:20], v[3:4]
	v_fma_f64 v[19:20], v[29:30], v[19:20], -v[13:14]
	v_fma_f64 v[13:14], -v[29:30], v[17:18], v[15:16]
	v_fma_f64 v[15:16], v[31:32], v[17:18], v[25:26]
	v_fma_f64 v[25:26], v[29:30], v[17:18], v[3:4]
	v_fma_f64 v[27:28], v[31:32], v[17:18], v[19:20]
	ds_write_b128 v11, v[13:16] offset:4096
	ds_write_b128 v12, v[25:28] offset:12288
	;; [unrolled: 18-line block ×3, first 2 shown]
	s_waitcnt lgkmcnt(0)
	s_barrier
	buffer_gl0_inv
	s_barrier
	buffer_gl0_inv
	ds_read_b128 v[12:15], v11 offset:8192
	ds_read_b128 v[16:19], v11
	ds_read_b128 v[20:23], v11 offset:4096
	ds_read_b128 v[24:27], v11 offset:12288
	;; [unrolled: 1-line block ×6, first 2 shown]
	s_waitcnt lgkmcnt(0)
	s_barrier
	buffer_gl0_inv
	v_add_f64 v[3:4], v[16:17], -v[12:13]
	v_add_f64 v[12:13], v[18:19], -v[14:15]
	;; [unrolled: 1-line block ×8, first 2 shown]
	v_fma_f64 v[16:17], v[16:17], 2.0, -v[3:4]
	v_fma_f64 v[18:19], v[18:19], 2.0, -v[12:13]
	;; [unrolled: 1-line block ×6, first 2 shown]
	v_add_f64 v[42:43], v[3:4], -v[24:25]
	v_add_f64 v[44:45], v[12:13], v[14:15]
	v_fma_f64 v[14:15], v[36:37], 2.0, -v[34:35]
	v_fma_f64 v[24:25], v[38:39], 2.0, -v[40:41]
	v_add_f64 v[36:37], v[26:27], -v[40:41]
	v_add_f64 v[34:35], v[32:33], v[34:35]
	v_add_f64 v[38:39], v[16:17], -v[20:21]
	v_add_f64 v[40:41], v[18:19], -v[22:23]
	v_fma_f64 v[3:4], v[3:4], 2.0, -v[42:43]
	v_fma_f64 v[46:47], v[12:13], 2.0, -v[44:45]
	v_add_f64 v[14:15], v[28:29], -v[14:15]
	v_add_f64 v[12:13], v[30:31], -v[24:25]
	v_fma_f64 v[26:27], v[26:27], 2.0, -v[36:37]
	v_fma_f64 v[24:25], v[32:33], 2.0, -v[34:35]
	v_fma_f64 v[20:21], v[36:37], s[4:5], v[42:43]
	v_fma_f64 v[22:23], v[34:35], s[4:5], v[44:45]
	v_fma_f64 v[48:49], v[16:17], 2.0, -v[38:39]
	v_fma_f64 v[50:51], v[18:19], 2.0, -v[40:41]
	;; [unrolled: 1-line block ×4, first 2 shown]
	v_fma_f64 v[32:33], v[26:27], s[0:1], v[3:4]
	v_fma_f64 v[52:53], v[24:25], s[0:1], v[46:47]
	v_add_f64 v[12:13], v[38:39], -v[12:13]
	v_add_f64 v[14:15], v[40:41], v[14:15]
	v_fma_f64 v[16:17], v[34:35], s[0:1], v[20:21]
	v_fma_f64 v[18:19], v[36:37], s[4:5], v[22:23]
	v_add_f64 v[20:21], v[48:49], -v[28:29]
	v_add_f64 v[22:23], v[50:51], -v[30:31]
	v_fma_f64 v[24:25], v[24:25], s[0:1], v[32:33]
	v_fma_f64 v[26:27], v[26:27], s[4:5], v[52:53]
	v_fma_f64 v[28:29], v[38:39], 2.0, -v[12:13]
	v_fma_f64 v[30:31], v[40:41], 2.0, -v[14:15]
	;; [unrolled: 1-line block ×8, first 2 shown]
	v_mul_u32_u24_e32 v3, 7, v10
	v_mad_u32_u24 v4, 0x70, v9, v11
	ds_write_b128 v4, v[12:15] offset:96
	ds_write_b128 v4, v[16:19] offset:112
	;; [unrolled: 1-line block ×6, first 2 shown]
	ds_write_b128 v4, v[36:39]
	ds_write_b128 v4, v[40:43] offset:16
	v_lshlrev_b32_e32 v3, 4, v3
	s_waitcnt lgkmcnt(0)
	s_barrier
	buffer_gl0_inv
	s_clause 0x6
	global_load_dwordx4 v[12:15], v3, s[12:13]
	global_load_dwordx4 v[16:19], v3, s[12:13] offset:16
	global_load_dwordx4 v[20:23], v3, s[12:13] offset:48
	;; [unrolled: 1-line block ×6, first 2 shown]
	ds_read_b128 v[40:43], v11 offset:2048
	ds_read_b128 v[44:47], v11 offset:4096
	;; [unrolled: 1-line block ×4, first 2 shown]
	s_waitcnt vmcnt(6) lgkmcnt(3)
	v_mul_f64 v[3:4], v[42:43], v[14:15]
	v_mul_f64 v[14:15], v[40:41], v[14:15]
	s_waitcnt vmcnt(5) lgkmcnt(2)
	v_mul_f64 v[56:57], v[46:47], v[18:19]
	v_mul_f64 v[18:19], v[44:45], v[18:19]
	v_fma_f64 v[3:4], v[40:41], v[12:13], -v[3:4]
	v_fma_f64 v[40:41], v[42:43], v[12:13], v[14:15]
	s_waitcnt vmcnt(4) lgkmcnt(1)
	v_mul_f64 v[42:43], v[50:51], v[22:23]
	v_mul_f64 v[22:23], v[48:49], v[22:23]
	ds_read_b128 v[12:15], v11 offset:10240
	v_fma_f64 v[44:45], v[44:45], v[16:17], -v[56:57]
	v_fma_f64 v[46:47], v[46:47], v[16:17], v[18:19]
	ds_read_b128 v[16:19], v11 offset:12288
	v_fma_f64 v[42:43], v[48:49], v[20:21], -v[42:43]
	v_fma_f64 v[48:49], v[50:51], v[20:21], v[22:23]
	ds_read_b128 v[20:23], v11 offset:14336
	s_waitcnt vmcnt(3) lgkmcnt(2)
	v_mul_f64 v[56:57], v[14:15], v[26:27]
	v_mul_f64 v[26:27], v[12:13], v[26:27]
	s_waitcnt vmcnt(0) lgkmcnt(0)
	v_mul_f64 v[58:59], v[22:23], v[38:39]
	v_mul_f64 v[38:39], v[20:21], v[38:39]
	v_fma_f64 v[56:57], v[12:13], v[24:25], -v[56:57]
	v_fma_f64 v[24:25], v[14:15], v[24:25], v[26:27]
	ds_read_b128 v[12:15], v11
	v_mul_f64 v[50:51], v[18:19], v[30:31]
	v_mul_f64 v[30:31], v[16:17], v[30:31]
	;; [unrolled: 1-line block ×4, first 2 shown]
	s_waitcnt lgkmcnt(0)
	s_barrier
	buffer_gl0_inv
	v_fma_f64 v[20:21], v[20:21], v[36:37], -v[58:59]
	v_fma_f64 v[22:23], v[22:23], v[36:37], v[38:39]
	v_add_f64 v[24:25], v[40:41], -v[24:25]
	v_fma_f64 v[16:17], v[16:17], v[28:29], -v[50:51]
	v_fma_f64 v[18:19], v[18:19], v[28:29], v[30:31]
	v_fma_f64 v[26:27], v[52:53], v[32:33], -v[26:27]
	v_fma_f64 v[28:29], v[54:55], v[32:33], v[34:35]
	v_add_f64 v[30:31], v[12:13], -v[42:43]
	v_add_f64 v[32:33], v[14:15], -v[48:49]
	;; [unrolled: 1-line block ×3, first 2 shown]
	v_fma_f64 v[40:41], v[40:41], 2.0, -v[24:25]
	v_add_f64 v[16:17], v[44:45], -v[16:17]
	v_add_f64 v[18:19], v[46:47], -v[18:19]
	;; [unrolled: 1-line block ×4, first 2 shown]
	v_fma_f64 v[12:13], v[12:13], 2.0, -v[30:31]
	v_fma_f64 v[14:15], v[14:15], 2.0, -v[32:33]
	;; [unrolled: 1-line block ×5, first 2 shown]
	v_add_f64 v[42:43], v[30:31], -v[18:19]
	v_add_f64 v[44:45], v[32:33], v[16:17]
	v_fma_f64 v[16:17], v[26:27], 2.0, -v[20:21]
	v_fma_f64 v[18:19], v[28:29], 2.0, -v[22:23]
	v_add_f64 v[22:23], v[34:35], -v[22:23]
	v_add_f64 v[20:21], v[24:25], v[20:21]
	v_add_f64 v[28:29], v[12:13], -v[36:37]
	v_add_f64 v[36:37], v[14:15], -v[38:39]
	v_fma_f64 v[46:47], v[30:31], 2.0, -v[42:43]
	v_fma_f64 v[48:49], v[32:33], 2.0, -v[44:45]
	v_add_f64 v[16:17], v[3:4], -v[16:17]
	v_add_f64 v[18:19], v[40:41], -v[18:19]
	v_fma_f64 v[26:27], v[34:35], 2.0, -v[22:23]
	v_fma_f64 v[24:25], v[24:25], 2.0, -v[20:21]
	v_fma_f64 v[30:31], v[22:23], s[4:5], v[42:43]
	v_fma_f64 v[32:33], v[20:21], s[4:5], v[44:45]
	v_fma_f64 v[38:39], v[12:13], 2.0, -v[28:29]
	v_fma_f64 v[50:51], v[14:15], 2.0, -v[36:37]
	v_fma_f64 v[3:4], v[3:4], 2.0, -v[16:17]
	v_fma_f64 v[34:35], v[40:41], 2.0, -v[18:19]
	v_fma_f64 v[40:41], v[26:27], s[0:1], v[46:47]
	v_fma_f64 v[52:53], v[24:25], s[0:1], v[48:49]
	v_add_f64 v[12:13], v[28:29], -v[18:19]
	v_add_f64 v[14:15], v[36:37], v[16:17]
	v_fma_f64 v[16:17], v[20:21], s[0:1], v[30:31]
	v_fma_f64 v[18:19], v[22:23], s[4:5], v[32:33]
	v_add_f64 v[20:21], v[38:39], -v[3:4]
	v_add_f64 v[22:23], v[50:51], -v[34:35]
	v_fma_f64 v[24:25], v[24:25], s[0:1], v[40:41]
	v_fma_f64 v[26:27], v[26:27], s[4:5], v[52:53]
	v_fma_f64 v[28:29], v[28:29], 2.0, -v[12:13]
	v_fma_f64 v[30:31], v[36:37], 2.0, -v[14:15]
	;; [unrolled: 1-line block ×4, first 2 shown]
	v_lshlrev_b32_e32 v3, 3, v9
	v_mul_u32_u24_e32 v4, 3, v60
	v_and_or_b32 v3, 0x3c0, v3, v10
	v_lshlrev_b32_e32 v4, 4, v4
	v_lshl_add_u32 v3, v3, 4, 0
	v_fma_f64 v[36:37], v[38:39], 2.0, -v[20:21]
	v_fma_f64 v[38:39], v[50:51], 2.0, -v[22:23]
	;; [unrolled: 1-line block ×4, first 2 shown]
	ds_write_b128 v3, v[12:15] offset:768
	ds_write_b128 v3, v[16:19] offset:896
	;; [unrolled: 1-line block ×6, first 2 shown]
	ds_write_b128 v3, v[36:39]
	ds_write_b128 v3, v[40:43] offset:128
	s_waitcnt lgkmcnt(0)
	s_barrier
	buffer_gl0_inv
	s_clause 0x2
	global_load_dwordx4 v[12:15], v4, s[12:13] offset:896
	global_load_dwordx4 v[16:19], v4, s[12:13] offset:912
	;; [unrolled: 1-line block ×3, first 2 shown]
	ds_read_b128 v[24:27], v11 offset:4096
	ds_read_b128 v[28:31], v11 offset:8192
	;; [unrolled: 1-line block ×6, first 2 shown]
	s_waitcnt vmcnt(2) lgkmcnt(5)
	v_mul_f64 v[48:49], v[24:25], v[14:15]
	s_waitcnt vmcnt(1) lgkmcnt(4)
	v_mul_f64 v[50:51], v[30:31], v[18:19]
	v_mul_f64 v[52:53], v[28:29], v[18:19]
	;; [unrolled: 1-line block ×3, first 2 shown]
	s_waitcnt vmcnt(0) lgkmcnt(3)
	v_mul_f64 v[54:55], v[34:35], v[22:23]
	v_mul_f64 v[56:57], v[32:33], v[22:23]
	s_waitcnt lgkmcnt(2)
	v_mul_f64 v[58:59], v[38:39], v[14:15]
	v_mul_f64 v[14:15], v[36:37], v[14:15]
	v_fma_f64 v[26:27], v[26:27], v[12:13], v[48:49]
	s_waitcnt lgkmcnt(1)
	v_mul_f64 v[48:49], v[42:43], v[18:19]
	v_mul_f64 v[18:19], v[40:41], v[18:19]
	v_fma_f64 v[28:29], v[28:29], v[16:17], -v[50:51]
	v_fma_f64 v[30:31], v[30:31], v[16:17], v[52:53]
	s_waitcnt lgkmcnt(0)
	v_mul_f64 v[50:51], v[46:47], v[22:23]
	v_mul_f64 v[52:53], v[44:45], v[22:23]
	v_fma_f64 v[3:4], v[24:25], v[12:13], -v[3:4]
	v_fma_f64 v[32:33], v[32:33], v[20:21], -v[54:55]
	v_fma_f64 v[34:35], v[34:35], v[20:21], v[56:57]
	v_fma_f64 v[36:37], v[36:37], v[12:13], -v[58:59]
	v_fma_f64 v[38:39], v[38:39], v[12:13], v[14:15]
	ds_read_b128 v[12:15], v11
	ds_read_b128 v[22:25], v11 offset:2048
	s_waitcnt lgkmcnt(0)
	s_barrier
	buffer_gl0_inv
	v_fma_f64 v[40:41], v[40:41], v[16:17], -v[48:49]
	v_fma_f64 v[16:17], v[42:43], v[16:17], v[18:19]
	v_fma_f64 v[18:19], v[44:45], v[20:21], -v[50:51]
	v_fma_f64 v[20:21], v[46:47], v[20:21], v[52:53]
	v_add_f64 v[32:33], v[3:4], -v[32:33]
	v_add_f64 v[28:29], v[12:13], -v[28:29]
	;; [unrolled: 1-line block ×8, first 2 shown]
	v_fma_f64 v[3:4], v[3:4], 2.0, -v[32:33]
	v_fma_f64 v[44:45], v[12:13], 2.0, -v[28:29]
	;; [unrolled: 1-line block ×4, first 2 shown]
	v_add_f64 v[12:13], v[28:29], -v[34:35]
	v_add_f64 v[14:15], v[30:31], v[32:33]
	v_fma_f64 v[48:49], v[22:23], 2.0, -v[40:41]
	v_fma_f64 v[50:51], v[24:25], 2.0, -v[42:43]
	;; [unrolled: 1-line block ×4, first 2 shown]
	v_add_f64 v[16:17], v[40:41], -v[16:17]
	v_add_f64 v[18:19], v[42:43], v[18:19]
	v_add_f64 v[20:21], v[44:45], -v[3:4]
	v_mul_u32_u24_e32 v4, 3, v9
	v_add_f64 v[22:23], v[46:47], -v[26:27]
	v_fma_f64 v[28:29], v[28:29], 2.0, -v[12:13]
	v_fma_f64 v[30:31], v[30:31], 2.0, -v[14:15]
	v_lshlrev_b32_e32 v3, 2, v0
	v_lshlrev_b32_e32 v4, 4, v4
	v_lshl_add_u32 v0, v0, 4, 0
	v_and_or_b32 v3, 0x100, v3, v60
	v_lshl_add_u32 v10, v3, 4, 0
	v_add_f64 v[24:25], v[48:49], -v[24:25]
	v_add_f64 v[26:27], v[50:51], -v[36:37]
	v_fma_f64 v[32:33], v[40:41], 2.0, -v[16:17]
	v_fma_f64 v[34:35], v[42:43], 2.0, -v[18:19]
	;; [unrolled: 1-line block ×3, first 2 shown]
	v_add_co_u32 v44, s0, s12, v4
	v_fma_f64 v[38:39], v[46:47], 2.0, -v[22:23]
	v_add_co_ci_u32_e64 v45, null, s13, 0, s0
	v_add_co_u32 v3, s0, 0x800, v44
	v_add_co_ci_u32_e64 v4, s0, 0, v45, s0
	v_fma_f64 v[40:41], v[48:49], 2.0, -v[24:25]
	v_fma_f64 v[42:43], v[50:51], 2.0, -v[26:27]
	ds_write_b128 v10, v[12:15] offset:3072
	ds_write_b128 v1, v[16:19] offset:3072
	;; [unrolled: 1-line block ×6, first 2 shown]
	ds_write_b128 v10, v[36:39]
	ds_write_b128 v1, v[40:43]
	s_waitcnt lgkmcnt(0)
	s_barrier
	buffer_gl0_inv
	global_load_dwordx4 v[12:15], v[3:4], off offset:1920
	v_add_co_u32 v3, s0, 0xf80, v44
	v_add_co_ci_u32_e64 v4, s0, 0, v45, s0
	s_clause 0x1
	global_load_dwordx4 v[16:19], v[3:4], off offset:16
	global_load_dwordx4 v[20:23], v[3:4], off offset:32
	v_add_co_u32 v3, s0, 0x2000, v44
	v_add_co_ci_u32_e64 v4, s0, 0, v45, s0
	v_add_co_u32 v32, s0, 0x2780, v44
	v_add_co_ci_u32_e64 v33, s0, 0, v45, s0
	s_clause 0x2
	global_load_dwordx4 v[24:27], v[3:4], off offset:1920
	global_load_dwordx4 v[28:31], v[32:33], off offset:16
	;; [unrolled: 1-line block ×3, first 2 shown]
	ds_read_b128 v[36:39], v11 offset:4096
	ds_read_b128 v[40:43], v11 offset:6144
	;; [unrolled: 1-line block ×5, first 2 shown]
	s_waitcnt vmcnt(5) lgkmcnt(4)
	v_mul_f64 v[3:4], v[38:39], v[14:15]
	v_mul_f64 v[14:15], v[36:37], v[14:15]
	s_waitcnt vmcnt(4) lgkmcnt(2)
	v_mul_f64 v[56:57], v[46:47], v[18:19]
	v_mul_f64 v[18:19], v[44:45], v[18:19]
	s_waitcnt vmcnt(2)
	v_mul_f64 v[58:59], v[42:43], v[26:27]
	v_fma_f64 v[3:4], v[36:37], v[12:13], -v[3:4]
	v_fma_f64 v[36:37], v[38:39], v[12:13], v[14:15]
	ds_read_b128 v[12:15], v11 offset:14336
	s_waitcnt lgkmcnt(2)
	v_mul_f64 v[38:39], v[50:51], v[22:23]
	v_mul_f64 v[22:23], v[48:49], v[22:23]
	v_fma_f64 v[44:45], v[44:45], v[16:17], -v[56:57]
	v_fma_f64 v[46:47], v[46:47], v[16:17], v[18:19]
	v_mul_f64 v[16:17], v[40:41], v[26:27]
	s_waitcnt vmcnt(1) lgkmcnt(1)
	v_mul_f64 v[26:27], v[54:55], v[30:31]
	v_mul_f64 v[30:31], v[52:53], v[30:31]
	v_fma_f64 v[40:41], v[40:41], v[24:25], -v[58:59]
	s_waitcnt vmcnt(0) lgkmcnt(0)
	v_mul_f64 v[56:57], v[14:15], v[34:35]
	v_mul_f64 v[34:35], v[12:13], v[34:35]
	v_fma_f64 v[38:39], v[48:49], v[20:21], -v[38:39]
	v_fma_f64 v[48:49], v[50:51], v[20:21], v[22:23]
	v_fma_f64 v[24:25], v[42:43], v[24:25], v[16:17]
	v_fma_f64 v[26:27], v[52:53], v[28:29], -v[26:27]
	v_fma_f64 v[28:29], v[54:55], v[28:29], v[30:31]
	ds_read_b128 v[16:19], v11
	ds_read_b128 v[20:23], v11 offset:2048
	s_waitcnt lgkmcnt(0)
	s_barrier
	buffer_gl0_inv
	v_fma_f64 v[12:13], v[12:13], v[32:33], -v[56:57]
	v_fma_f64 v[14:15], v[14:15], v[32:33], v[34:35]
	v_add_f64 v[34:35], v[3:4], -v[38:39]
	v_add_f64 v[38:39], v[36:37], -v[48:49]
	v_add_f64 v[30:31], v[16:17], -v[44:45]
	v_add_f64 v[32:33], v[18:19], -v[46:47]
	v_add_f64 v[42:43], v[20:21], -v[26:27]
	v_add_f64 v[44:45], v[22:23], -v[28:29]
	v_add_f64 v[26:27], v[40:41], -v[12:13]
	v_add_f64 v[28:29], v[24:25], -v[14:15]
	v_fma_f64 v[3:4], v[3:4], 2.0, -v[34:35]
	v_fma_f64 v[36:37], v[36:37], 2.0, -v[38:39]
	v_fma_f64 v[46:47], v[16:17], 2.0, -v[30:31]
	v_fma_f64 v[48:49], v[18:19], 2.0, -v[32:33]
	v_fma_f64 v[50:51], v[20:21], 2.0, -v[42:43]
	v_fma_f64 v[52:53], v[22:23], 2.0, -v[44:45]
	v_add_f64 v[12:13], v[30:31], -v[38:39]
	v_add_f64 v[14:15], v[32:33], v[34:35]
	v_fma_f64 v[40:41], v[40:41], 2.0, -v[26:27]
	v_fma_f64 v[54:55], v[24:25], 2.0, -v[28:29]
	v_add_f64 v[16:17], v[42:43], -v[28:29]
	v_add_f64 v[18:19], v[44:45], v[26:27]
	v_add_f64 v[20:21], v[46:47], -v[3:4]
	v_add_f64 v[22:23], v[48:49], -v[36:37]
	v_fma_f64 v[28:29], v[30:31], 2.0, -v[12:13]
	v_fma_f64 v[30:31], v[32:33], 2.0, -v[14:15]
	v_add_f64 v[24:25], v[50:51], -v[40:41]
	v_add_f64 v[26:27], v[52:53], -v[54:55]
	v_fma_f64 v[32:33], v[42:43], 2.0, -v[16:17]
	v_fma_f64 v[34:35], v[44:45], 2.0, -v[18:19]
	;; [unrolled: 1-line block ×6, first 2 shown]
	ds_write_b128 v11, v[12:15] offset:12288
	ds_write_b128 v11, v[28:31] offset:4096
	;; [unrolled: 1-line block ×5, first 2 shown]
	ds_write_b128 v11, v[36:39]
	ds_write_b128 v11, v[40:43] offset:2048
	ds_write_b128 v0, v[16:19] offset:14336
	s_waitcnt lgkmcnt(0)
	s_barrier
	buffer_gl0_inv
	s_and_saveexec_b32 s0, vcc_lo
	s_cbranch_execz .LBB0_21
; %bb.20:
	v_mul_lo_u32 v0, s3, v7
	v_mul_lo_u32 v1, s2, v8
	v_mad_u64_u32 v[3:4], null, s2, v7, 0
	v_mov_b32_e32 v10, v2
	v_lshlrev_b64 v[7:8], 4, v[5:6]
	v_lshlrev_b64 v[18:19], 4, v[9:10]
	v_add3_u32 v4, v4, v1, v0
	v_lshl_add_u32 v0, v9, 4, 0
	v_add_nc_u32_e32 v1, 0x80, v9
	v_lshlrev_b64 v[14:15], 4, v[3:4]
	ds_read_b128 v[3:6], v0
	ds_read_b128 v[10:13], v0 offset:2048
	v_lshlrev_b64 v[20:21], 4, v[1:2]
	v_add_nc_u32_e32 v1, 0x100, v9
	v_add_co_u32 v22, vcc_lo, s10, v14
	v_add_co_ci_u32_e32 v23, vcc_lo, s11, v15, vcc_lo
	ds_read_b128 v[14:17], v0 offset:4096
	v_add_co_u32 v32, vcc_lo, v22, v7
	v_add_co_ci_u32_e32 v33, vcc_lo, v23, v8, vcc_lo
	v_lshlrev_b64 v[7:8], 4, v[1:2]
	v_add_co_u32 v18, vcc_lo, v32, v18
	v_add_co_ci_u32_e32 v19, vcc_lo, v33, v19, vcc_lo
	v_add_co_u32 v20, vcc_lo, v32, v20
	v_add_nc_u32_e32 v1, 0x180, v9
	v_add_co_ci_u32_e32 v21, vcc_lo, v33, v21, vcc_lo
	v_add_co_u32 v7, vcc_lo, v32, v7
	v_add_co_ci_u32_e32 v8, vcc_lo, v33, v8, vcc_lo
	v_lshlrev_b64 v[22:23], 4, v[1:2]
	v_add_nc_u32_e32 v1, 0x200, v9
	s_waitcnt lgkmcnt(2)
	global_store_dwordx4 v[18:19], v[3:6], off
	s_waitcnt lgkmcnt(1)
	global_store_dwordx4 v[20:21], v[10:13], off
	;; [unrolled: 2-line block ×3, first 2 shown]
	ds_read_b128 v[3:6], v0 offset:6144
	v_lshlrev_b64 v[7:8], 4, v[1:2]
	v_add_nc_u32_e32 v1, 0x280, v9
	v_add_co_u32 v26, vcc_lo, v32, v22
	v_add_co_ci_u32_e32 v27, vcc_lo, v33, v23, vcc_lo
	ds_read_b128 v[10:13], v0 offset:8192
	ds_read_b128 v[14:17], v0 offset:10240
	ds_read_b128 v[18:21], v0 offset:12288
	ds_read_b128 v[22:25], v0 offset:14336
	v_lshlrev_b64 v[28:29], 4, v[1:2]
	v_add_nc_u32_e32 v1, 0x300, v9
	v_add_co_u32 v7, vcc_lo, v32, v7
	v_add_co_ci_u32_e32 v8, vcc_lo, v33, v8, vcc_lo
	v_lshlrev_b64 v[30:31], 4, v[1:2]
	v_add_nc_u32_e32 v1, 0x380, v9
	v_add_co_u32 v28, vcc_lo, v32, v28
	v_add_co_ci_u32_e32 v29, vcc_lo, v33, v29, vcc_lo
	v_lshlrev_b64 v[0:1], 4, v[1:2]
	v_add_co_u32 v30, vcc_lo, v32, v30
	v_add_co_ci_u32_e32 v31, vcc_lo, v33, v31, vcc_lo
	v_add_co_u32 v0, vcc_lo, v32, v0
	v_add_co_ci_u32_e32 v1, vcc_lo, v33, v1, vcc_lo
	s_waitcnt lgkmcnt(4)
	global_store_dwordx4 v[26:27], v[3:6], off
	s_waitcnt lgkmcnt(3)
	global_store_dwordx4 v[7:8], v[10:13], off
	;; [unrolled: 2-line block ×5, first 2 shown]
.LBB0_21:
	s_endpgm
	.section	.rodata,"a",@progbits
	.p2align	6, 0x0
	.amdhsa_kernel fft_rtc_fwd_len1024_factors_8_8_4_4_wgs_128_tpt_128_halfLds_dp_op_CI_CI_unitstride_sbrr_C2R_dirReg
		.amdhsa_group_segment_fixed_size 0
		.amdhsa_private_segment_fixed_size 0
		.amdhsa_kernarg_size 104
		.amdhsa_user_sgpr_count 6
		.amdhsa_user_sgpr_private_segment_buffer 1
		.amdhsa_user_sgpr_dispatch_ptr 0
		.amdhsa_user_sgpr_queue_ptr 0
		.amdhsa_user_sgpr_kernarg_segment_ptr 1
		.amdhsa_user_sgpr_dispatch_id 0
		.amdhsa_user_sgpr_flat_scratch_init 0
		.amdhsa_user_sgpr_private_segment_size 0
		.amdhsa_wavefront_size32 1
		.amdhsa_uses_dynamic_stack 0
		.amdhsa_system_sgpr_private_segment_wavefront_offset 0
		.amdhsa_system_sgpr_workgroup_id_x 1
		.amdhsa_system_sgpr_workgroup_id_y 0
		.amdhsa_system_sgpr_workgroup_id_z 0
		.amdhsa_system_sgpr_workgroup_info 0
		.amdhsa_system_vgpr_workitem_id 0
		.amdhsa_next_free_vgpr 61
		.amdhsa_next_free_sgpr 27
		.amdhsa_reserve_vcc 1
		.amdhsa_reserve_flat_scratch 0
		.amdhsa_float_round_mode_32 0
		.amdhsa_float_round_mode_16_64 0
		.amdhsa_float_denorm_mode_32 3
		.amdhsa_float_denorm_mode_16_64 3
		.amdhsa_dx10_clamp 1
		.amdhsa_ieee_mode 1
		.amdhsa_fp16_overflow 0
		.amdhsa_workgroup_processor_mode 1
		.amdhsa_memory_ordered 1
		.amdhsa_forward_progress 0
		.amdhsa_shared_vgpr_count 0
		.amdhsa_exception_fp_ieee_invalid_op 0
		.amdhsa_exception_fp_denorm_src 0
		.amdhsa_exception_fp_ieee_div_zero 0
		.amdhsa_exception_fp_ieee_overflow 0
		.amdhsa_exception_fp_ieee_underflow 0
		.amdhsa_exception_fp_ieee_inexact 0
		.amdhsa_exception_int_div_zero 0
	.end_amdhsa_kernel
	.text
.Lfunc_end0:
	.size	fft_rtc_fwd_len1024_factors_8_8_4_4_wgs_128_tpt_128_halfLds_dp_op_CI_CI_unitstride_sbrr_C2R_dirReg, .Lfunc_end0-fft_rtc_fwd_len1024_factors_8_8_4_4_wgs_128_tpt_128_halfLds_dp_op_CI_CI_unitstride_sbrr_C2R_dirReg
                                        ; -- End function
	.section	.AMDGPU.csdata,"",@progbits
; Kernel info:
; codeLenInByte = 6088
; NumSgprs: 29
; NumVgprs: 61
; ScratchSize: 0
; MemoryBound: 0
; FloatMode: 240
; IeeeMode: 1
; LDSByteSize: 0 bytes/workgroup (compile time only)
; SGPRBlocks: 3
; VGPRBlocks: 7
; NumSGPRsForWavesPerEU: 29
; NumVGPRsForWavesPerEU: 61
; Occupancy: 16
; WaveLimiterHint : 1
; COMPUTE_PGM_RSRC2:SCRATCH_EN: 0
; COMPUTE_PGM_RSRC2:USER_SGPR: 6
; COMPUTE_PGM_RSRC2:TRAP_HANDLER: 0
; COMPUTE_PGM_RSRC2:TGID_X_EN: 1
; COMPUTE_PGM_RSRC2:TGID_Y_EN: 0
; COMPUTE_PGM_RSRC2:TGID_Z_EN: 0
; COMPUTE_PGM_RSRC2:TIDIG_COMP_CNT: 0
	.text
	.p2alignl 6, 3214868480
	.fill 48, 4, 3214868480
	.type	__hip_cuid_55fb04a824080372,@object ; @__hip_cuid_55fb04a824080372
	.section	.bss,"aw",@nobits
	.globl	__hip_cuid_55fb04a824080372
__hip_cuid_55fb04a824080372:
	.byte	0                               ; 0x0
	.size	__hip_cuid_55fb04a824080372, 1

	.ident	"AMD clang version 19.0.0git (https://github.com/RadeonOpenCompute/llvm-project roc-6.4.0 25133 c7fe45cf4b819c5991fe208aaa96edf142730f1d)"
	.section	".note.GNU-stack","",@progbits
	.addrsig
	.addrsig_sym __hip_cuid_55fb04a824080372
	.amdgpu_metadata
---
amdhsa.kernels:
  - .args:
      - .actual_access:  read_only
        .address_space:  global
        .offset:         0
        .size:           8
        .value_kind:     global_buffer
      - .offset:         8
        .size:           8
        .value_kind:     by_value
      - .actual_access:  read_only
        .address_space:  global
        .offset:         16
        .size:           8
        .value_kind:     global_buffer
      - .actual_access:  read_only
        .address_space:  global
        .offset:         24
        .size:           8
        .value_kind:     global_buffer
      - .actual_access:  read_only
        .address_space:  global
        .offset:         32
        .size:           8
        .value_kind:     global_buffer
      - .offset:         40
        .size:           8
        .value_kind:     by_value
      - .actual_access:  read_only
        .address_space:  global
        .offset:         48
        .size:           8
        .value_kind:     global_buffer
      - .actual_access:  read_only
        .address_space:  global
        .offset:         56
        .size:           8
        .value_kind:     global_buffer
      - .offset:         64
        .size:           4
        .value_kind:     by_value
      - .actual_access:  read_only
        .address_space:  global
        .offset:         72
        .size:           8
        .value_kind:     global_buffer
      - .actual_access:  read_only
        .address_space:  global
        .offset:         80
        .size:           8
        .value_kind:     global_buffer
      - .actual_access:  read_only
        .address_space:  global
        .offset:         88
        .size:           8
        .value_kind:     global_buffer
      - .actual_access:  write_only
        .address_space:  global
        .offset:         96
        .size:           8
        .value_kind:     global_buffer
    .group_segment_fixed_size: 0
    .kernarg_segment_align: 8
    .kernarg_segment_size: 104
    .language:       OpenCL C
    .language_version:
      - 2
      - 0
    .max_flat_workgroup_size: 128
    .name:           fft_rtc_fwd_len1024_factors_8_8_4_4_wgs_128_tpt_128_halfLds_dp_op_CI_CI_unitstride_sbrr_C2R_dirReg
    .private_segment_fixed_size: 0
    .sgpr_count:     29
    .sgpr_spill_count: 0
    .symbol:         fft_rtc_fwd_len1024_factors_8_8_4_4_wgs_128_tpt_128_halfLds_dp_op_CI_CI_unitstride_sbrr_C2R_dirReg.kd
    .uniform_work_group_size: 1
    .uses_dynamic_stack: false
    .vgpr_count:     61
    .vgpr_spill_count: 0
    .wavefront_size: 32
    .workgroup_processor_mode: 1
amdhsa.target:   amdgcn-amd-amdhsa--gfx1030
amdhsa.version:
  - 1
  - 2
...

	.end_amdgpu_metadata
